;; amdgpu-corpus repo=LLNL/RAJAPerf kind=compiled arch=gfx1250 opt=O3
	.amdgcn_target "amdgcn-amd-amdhsa--gfx1250"
	.amdhsa_code_object_version 6
	.section	.text._ZN8rajaperf4apps13Diffusion3DPAILm64EEEvPdS2_S2_S2_S2_b,"axG",@progbits,_ZN8rajaperf4apps13Diffusion3DPAILm64EEEvPdS2_S2_S2_S2_b,comdat
	.protected	_ZN8rajaperf4apps13Diffusion3DPAILm64EEEvPdS2_S2_S2_S2_b ; -- Begin function _ZN8rajaperf4apps13Diffusion3DPAILm64EEEvPdS2_S2_S2_S2_b
	.globl	_ZN8rajaperf4apps13Diffusion3DPAILm64EEEvPdS2_S2_S2_S2_b
	.p2align	8
	.type	_ZN8rajaperf4apps13Diffusion3DPAILm64EEEvPdS2_S2_S2_S2_b,@function
_ZN8rajaperf4apps13Diffusion3DPAILm64EEEvPdS2_S2_S2_S2_b: ; @_ZN8rajaperf4apps13Diffusion3DPAILm64EEEvPdS2_S2_S2_S2_b
; %bb.0:
	s_load_b256 s[8:15], s[0:1], 0x8
	s_bfe_u32 s2, ttmp6, 0x4000c
	v_bfe_u32 v1, v0, 20, 10
	s_add_co_i32 s2, s2, 1
	s_and_b32 s3, ttmp6, 15
	s_mul_i32 s2, ttmp9, s2
	s_getreg_b32 s4, hwreg(HW_REG_IB_STS2, 6, 4)
	s_add_co_i32 s3, s3, s2
	v_cmp_gt_u32_e64 s2, 3, v1
	v_bfe_u32 v54, v0, 10, 10
	s_cmp_eq_u32 s4, 0
	s_mov_b32 s7, 0
	s_cselect_b32 s6, ttmp9, s3
	s_and_saveexec_b32 s3, s2
	s_cbranch_execz .LBB0_4
; %bb.1:
	v_cmp_gt_u32_e32 vcc_lo, 3, v54
	s_and_b32 exec_lo, exec_lo, vcc_lo
	s_cbranch_execz .LBB0_4
; %bb.2:
	v_and_b32_e32 v2, 0x3ff, v0
	s_delay_alu instid0(VALU_DEP_1)
	v_cmp_gt_u32_e32 vcc_lo, 3, v2
	s_and_b32 exec_lo, exec_lo, vcc_lo
	s_cbranch_execz .LBB0_4
; %bb.3:
	v_mul_u32_u24_e32 v4, 24, v54
	v_dual_mov_b32 v5, 0 :: v_dual_lshlrev_b32 v2, 3, v2
	s_wait_kmcnt 0x0
	s_delay_alu instid0(VALU_DEP_1) | instskip(SKIP_1) | instid1(VALU_DEP_1)
	v_add_nc_u64_e32 v[6:7], s[12:13], v[4:5]
	v_mov_b32_e32 v3, v5
	v_add_nc_u64_e32 v[6:7], v[6:7], v[2:3]
	v_mul_u32_u24_e32 v3, 0x48, v1
	s_delay_alu instid0(VALU_DEP_1) | instskip(NEXT) | instid1(VALU_DEP_3)
	v_add3_u32 v2, v3, v4, v2
	v_mad_co_u64_u32 v[6:7], null, 0x48, v1, v[6:7]
	s_delay_alu instid0(VALU_DEP_1)
	v_mad_nc_u64_u32 v[6:7], 0xd8, s6, v[6:7]
	global_load_b64 v[6:7], v[6:7], off
	s_wait_loadcnt 0x0
	ds_store_b64 v2, v[6:7] offset:1024
.LBB0_4:
	s_or_b32 exec_lo, exec_lo, s3
	v_cmp_eq_u32_e64 s3, 0, v1
	s_and_saveexec_b32 s4, s3
	s_cbranch_execz .LBB0_8
; %bb.5:
	v_cmp_gt_u32_e32 vcc_lo, 3, v54
	s_and_b32 exec_lo, exec_lo, vcc_lo
	s_cbranch_execz .LBB0_8
; %bb.6:
	v_and_b32_e32 v2, 0x3ff, v0
	s_delay_alu instid0(VALU_DEP_1)
	v_cmp_gt_u32_e32 vcc_lo, 4, v2
	s_and_b32 exec_lo, exec_lo, vcc_lo
	s_cbranch_execz .LBB0_8
; %bb.7:
	v_lshlrev_b32_e32 v3, 3, v2
	s_delay_alu instid0(VALU_DEP_1) | instskip(SKIP_4) | instid1(VALU_DEP_1)
	v_lshl_or_b32 v3, v54, 5, v3
	s_wait_kmcnt 0x0
	global_load_b64 v[4:5], v3, s[8:9]
	s_wait_xcnt 0x0
	v_lshlrev_b32_e32 v3, 3, v54
	v_mad_u32_u24 v2, v2, 24, v3
	s_wait_loadcnt 0x0
	ds_store_b64 v2, v[4:5] offset:3072
.LBB0_8:
	s_or_b32 exec_lo, exec_lo, s4
	s_wait_dscnt 0x0
	s_barrier_signal -1
	s_barrier_wait -1
	s_and_saveexec_b32 s4, s2
	s_cbranch_execz .LBB0_12
; %bb.9:
	v_cmp_gt_u32_e32 vcc_lo, 3, v54
	s_and_b32 exec_lo, exec_lo, vcc_lo
	s_cbranch_execz .LBB0_12
; %bb.10:
	v_and_b32_e32 v2, 0x3ff, v0
	s_delay_alu instid0(VALU_DEP_1)
	v_cmp_gt_u32_e32 vcc_lo, 4, v2
	s_and_b32 exec_lo, exec_lo, vcc_lo
	s_cbranch_execz .LBB0_12
; %bb.11:
	v_mul_u32_u24_e32 v3, 24, v54
	v_mad_u32_u24 v8, v2, 24, 0xc00
	v_mul_u32_u24_e32 v14, 24, v2
	v_lshlrev_b32_e32 v2, 3, v2
	s_delay_alu instid0(VALU_DEP_4)
	v_mad_u32_u24 v3, 0x48, v1, v3
	ds_load_2addr_b64 v[4:7], v3 offset0:128 offset1:129
	ds_load_2addr_b64 v[8:11], v8 offset1:1
	ds_load_b64 v[12:13], v3 offset:1040
	ds_load_b64 v[14:15], v14 offset:3088
	v_mul_u32_u24_e32 v3, 24, v1
	s_delay_alu instid0(VALU_DEP_1) | instskip(SKIP_2) | instid1(VALU_DEP_1)
	v_mad_u32_u24 v3, 0x48, v1, v3
	s_wait_dscnt 0x2
	v_fma_f64 v[4:5], v[4:5], v[8:9], 0
	v_fmac_f64_e32 v[4:5], v[6:7], v[10:11]
	v_lshlrev_b32_e32 v6, 5, v54
	s_delay_alu instid0(VALU_DEP_1) | instskip(SKIP_1) | instid1(VALU_DEP_3)
	v_add3_u32 v2, v3, v6, v2
	s_wait_dscnt 0x0
	v_fmac_f64_e32 v[4:5], v[12:13], v[14:15]
	ds_store_2addr_stride64_b64 v2, v[4:5], v[4:5] offset1:1
.LBB0_12:
	s_or_b32 exec_lo, exec_lo, s4
	s_wait_dscnt 0x0
	s_barrier_signal -1
	s_barrier_wait -1
	s_and_saveexec_b32 s4, s2
	s_cbranch_execz .LBB0_16
; %bb.13:
	v_cmp_gt_u32_e32 vcc_lo, 4, v54
	s_and_b32 exec_lo, exec_lo, vcc_lo
	s_cbranch_execz .LBB0_16
; %bb.14:
	v_and_b32_e32 v2, 0x3ff, v0
	s_delay_alu instid0(VALU_DEP_1)
	v_cmp_gt_u32_e32 vcc_lo, 4, v2
	s_and_b32 exec_lo, exec_lo, vcc_lo
	s_cbranch_execz .LBB0_16
; %bb.15:
	v_lshlrev_b32_e32 v18, 3, v2
	v_mad_u32_u24 v2, v54, 24, 0xc00
	v_mul_u32_u24_e32 v14, 24, v54
	s_delay_alu instid0(VALU_DEP_3)
	v_mad_u32_u24 v19, 0x60, v1, v18
	ds_load_2addr_b64 v[2:5], v2 offset1:1
	ds_load_2addr_b64 v[6:9], v19 offset0:8 offset1:64
	ds_load_2addr_b64 v[10:13], v19 offset1:4
	ds_load_b64 v[14:15], v14 offset:3088
	s_wait_dscnt 0x2
	v_fma_f64 v[16:17], v[8:9], v[2:3], 0
	s_wait_dscnt 0x1
	v_fma_f64 v[2:3], v[2:3], v[10:11], 0
	ds_load_2addr_b64 v[8:11], v19 offset0:68 offset1:72
	s_wait_dscnt 0x0
	v_fmac_f64_e32 v[16:17], v[8:9], v[4:5]
	v_fmac_f64_e32 v[2:3], v[4:5], v[12:13]
	v_dual_lshlrev_b32 v4, 7, v1 :: v_dual_lshlrev_b32 v5, 5, v54
	s_delay_alu instid0(VALU_DEP_1) | instskip(NEXT) | instid1(VALU_DEP_4)
	v_add3_u32 v4, v4, v5, v18
	v_fmac_f64_e32 v[16:17], v[10:11], v[14:15]
	s_delay_alu instid0(VALU_DEP_4)
	v_fmac_f64_e32 v[2:3], v[14:15], v[6:7]
	ds_store_2addr_stride64_b64 v4, v[16:17], v[2:3] offset0:3 offset1:4
	ds_store_b64 v4, v[2:3] offset:2560
.LBB0_16:
	s_or_b32 exec_lo, exec_lo, s4
	v_cmp_gt_u32_e64 s4, 4, v1
	s_wait_dscnt 0x0
	s_barrier_signal -1
	s_barrier_wait -1
	s_and_saveexec_b32 s5, s4
	s_cbranch_execz .LBB0_26
; %bb.17:
	v_cmp_gt_u32_e32 vcc_lo, 4, v54
	s_and_b32 exec_lo, exec_lo, vcc_lo
	s_cbranch_execz .LBB0_26
; %bb.18:
	v_and_b32_e32 v2, 0x3ff, v0
	s_delay_alu instid0(VALU_DEP_1)
	v_cmp_gt_u32_e32 vcc_lo, 4, v2
	s_and_b32 exec_lo, exec_lo, vcc_lo
	s_cbranch_execz .LBB0_26
; %bb.19:
	v_dual_mov_b32 v23, 0 :: v_dual_lshlrev_b32 v22, 5, v54
	v_dual_lshlrev_b32 v24, 7, v1 :: v_dual_lshlrev_b32 v26, 3, v2
	s_wait_xcnt 0x0
	s_load_b32 s0, s[0:1], 0x28
	v_mad_u32_u24 v18, v1, 24, 0xc00
	s_wait_kmcnt 0x0
	v_add_nc_u64_e32 v[4:5], s[10:11], v[22:23]
	v_dual_mov_b32 v25, v23 :: v_dual_mov_b32 v27, v23
	s_mul_u64 s[10:11], s[6:7], 0x180
	v_add_nc_u32_e32 v23, v22, v26
	v_mul_u32_u24_e32 v19, 24, v1
	s_delay_alu instid0(VALU_DEP_3) | instskip(NEXT) | instid1(VALU_DEP_3)
	v_add_nc_u64_e32 v[4:5], v[4:5], v[24:25]
	v_add_nc_u32_e32 v2, 0x400, v23
	v_add_nc_u32_e32 v14, 0x800, v23
	s_delay_alu instid0(VALU_DEP_3) | instskip(SKIP_2) | instid1(VALU_DEP_1)
	v_add_nc_u64_e32 v[40:41], v[4:5], v[26:27]
	s_bitcmp1_b32 s0, 0
	s_cselect_b32 s0, -1, 0
	v_lshl_add_u64 v[44:45], s[10:11], 3, v[40:41]
	s_and_b32 vcc_lo, exec_lo, s0
	s_xor_b32 s1, s0, -1
	s_clause 0x2
	global_load_b64 v[34:35], v[44:45], off offset:512
	global_load_b64 v[30:31], v[44:45], off
	global_load_b64 v[28:29], v[44:45], off offset:1024
	ds_load_2addr_b64 v[6:9], v23 offset0:192 offset1:208
	ds_load_2addr_b64 v[2:5], v2 offset0:96 offset1:128
	;; [unrolled: 1-line block ×4, first 2 shown]
	ds_load_b64 v[32:33], v19 offset:3088
	ds_load_2addr_b64 v[18:21], v18 offset1:1
	ds_load_b64 v[36:37], v23 offset:2816
	s_wait_loadcnt 0x2
	v_mov_b64_e32 v[38:39], v[34:35]
	s_cbranch_vccnz .LBB0_21
; %bb.20:
	global_load_b64 v[38:39], v[44:45], off offset:1536
.LBB0_21:
	v_add_nc_u64_e32 v[42:43], 0x600, v[40:41]
	v_add_nc_u64_e32 v[46:47], 0x800, v[40:41]
	;; [unrolled: 1-line block ×3, first 2 shown]
	s_lshl_b64 s[12:13], s[10:11], 3
	v_cndmask_b32_e64 v23, 0, 1, s1
	s_and_not1_b32 vcc_lo, exec_lo, s1
	s_delay_alu instid0(VALU_DEP_3) | instskip(NEXT) | instid1(VALU_DEP_3)
	v_dual_cndmask_b32 v43, v47, v43, s0 :: v_dual_cndmask_b32 v42, v46, v42, s0
	v_dual_cndmask_b32 v47, v51, v47, s0 :: v_dual_cndmask_b32 v46, v50, v46, s0
	s_delay_alu instid0(VALU_DEP_2) | instskip(NEXT) | instid1(VALU_DEP_2)
	v_add_nc_u64_e32 v[52:53], s[12:13], v[42:43]
	v_add_nc_u64_e32 v[46:47], s[12:13], v[46:47]
	global_load_b64 v[48:49], v[52:53], off
	global_load_b64 v[42:43], v[46:47], off
	s_wait_loadcnt 0x2
	s_wait_xcnt 0x0
	v_mov_b64_e32 v[46:47], v[28:29]
	s_cbranch_vccnz .LBB0_23
; %bb.22:
	global_load_b64 v[46:47], v[44:45], off offset:3072
.LBB0_23:
	v_cmp_ne_u32_e32 vcc_lo, 1, v23
	s_wait_loadcnt 0x0
	v_mov_b64_e32 v[52:53], v[42:43]
	s_cbranch_vccnz .LBB0_25
; %bb.24:
	global_load_b64 v[52:53], v[44:45], off offset:3584
.LBB0_25:
	v_add_nc_u64_e32 v[40:41], 0x1000, v[40:41]
	s_wait_dscnt 0x1
	v_fma_f64 v[4:5], v[18:19], v[4:5], 0
	v_fma_f64 v[6:7], v[6:7], v[18:19], 0
	;; [unrolled: 1-line block ×3, first 2 shown]
	s_delay_alu instid0(VALU_DEP_4) | instskip(NEXT) | instid1(VALU_DEP_1)
	v_dual_cndmask_b32 v41, v41, v51, s0 :: v_dual_cndmask_b32 v40, v40, v50, s0
	v_lshl_add_u64 v[40:41], s[10:11], 3, v[40:41]
	global_load_b64 v[40:41], v[40:41], off
	v_fmac_f64_e32 v[4:5], v[20:21], v[14:15]
	v_fmac_f64_e32 v[6:7], v[8:9], v[20:21]
	;; [unrolled: 1-line block ×3, first 2 shown]
	s_delay_alu instid0(VALU_DEP_3) | instskip(NEXT) | instid1(VALU_DEP_3)
	v_fmac_f64_e32 v[4:5], v[32:33], v[16:17]
	v_fmac_f64_e32 v[6:7], v[2:3], v[32:33]
	s_wait_dscnt 0x0
	s_delay_alu instid0(VALU_DEP_3) | instskip(NEXT) | instid1(VALU_DEP_3)
	v_fmac_f64_e32 v[10:11], v[32:33], v[36:37]
	v_mul_f64_e32 v[2:3], v[4:5], v[34:35]
	v_mul_f64_e32 v[8:9], v[4:5], v[48:49]
	s_wait_loadcnt 0x1
	v_mul_f64_e32 v[4:5], v[4:5], v[52:53]
	s_delay_alu instid0(VALU_DEP_3) | instskip(NEXT) | instid1(VALU_DEP_3)
	v_fmac_f64_e32 v[2:3], v[6:7], v[30:31]
	v_fmac_f64_e32 v[8:9], v[6:7], v[38:39]
	s_delay_alu instid0(VALU_DEP_3) | instskip(SKIP_1) | instid1(VALU_DEP_4)
	v_fmac_f64_e32 v[4:5], v[6:7], v[46:47]
	v_add3_u32 v6, v24, v22, v26
	v_fmac_f64_e32 v[2:3], v[10:11], v[28:29]
	s_delay_alu instid0(VALU_DEP_4) | instskip(SKIP_1) | instid1(VALU_DEP_4)
	v_fmac_f64_e32 v[8:9], v[10:11], v[42:43]
	s_wait_loadcnt 0x0
	v_fmac_f64_e32 v[4:5], v[10:11], v[40:41]
	ds_store_2addr_stride64_b64 v6, v[2:3], v[8:9] offset1:1
	ds_store_b64 v6, v[4:5] offset:1024
.LBB0_26:
	s_or_b32 exec_lo, exec_lo, s5
	s_wait_dscnt 0x0
	s_barrier_signal -1
	s_barrier_wait -1
	s_wait_xcnt 0x0
	s_and_saveexec_b32 s0, s3
	s_cbranch_execz .LBB0_30
; %bb.27:
	v_cmp_gt_u32_e32 vcc_lo, 3, v54
	s_and_b32 exec_lo, exec_lo, vcc_lo
	s_cbranch_execz .LBB0_30
; %bb.28:
	v_and_b32_e32 v2, 0x3ff, v0
	s_delay_alu instid0(VALU_DEP_1)
	v_cmp_gt_u32_e32 vcc_lo, 4, v2
	s_and_b32 exec_lo, exec_lo, vcc_lo
	s_cbranch_execz .LBB0_30
; %bb.29:
	v_lshlrev_b32_e32 v4, 5, v54
	v_lshlrev_b32_e32 v5, 3, v2
	s_delay_alu instid0(VALU_DEP_1)
	v_dual_add_nc_u32 v4, v4, v5 :: v_dual_bitop2_b32 v2, v4, v5 bitop3:0x54
	s_wait_kmcnt 0x0
	global_load_b64 v[2:3], v2, s[8:9]
	s_wait_loadcnt 0x0
	ds_store_b64 v4, v[2:3] offset:3072
.LBB0_30:
	s_or_b32 exec_lo, exec_lo, s0
	s_wait_dscnt 0x0
	s_barrier_signal -1
	s_barrier_wait -1
	s_and_saveexec_b32 s0, s4
	s_cbranch_execz .LBB0_34
; %bb.31:
	v_cmp_gt_u32_e32 vcc_lo, 4, v54
	s_and_b32 exec_lo, exec_lo, vcc_lo
	s_cbranch_execz .LBB0_34
; %bb.32:
	v_and_b32_e32 v2, 0x3ff, v0
	s_delay_alu instid0(VALU_DEP_1)
	v_cmp_gt_u32_e32 vcc_lo, 3, v2
	s_and_b32 exec_lo, exec_lo, vcc_lo
	s_cbranch_execz .LBB0_34
; %bb.33:
	v_lshlrev_b32_e32 v3, 5, v54
	v_dual_lshlrev_b32 v20, 5, v2 :: v_dual_lshlrev_b32 v2, 3, v2
	s_delay_alu instid0(VALU_DEP_2)
	v_lshl_add_u32 v3, v1, 7, v3
	ds_load_b128 v[4:7], v20 offset:3072
	ds_load_b128 v[8:11], v3
	ds_load_b128 v[12:15], v3 offset:512
	ds_load_b128 v[16:19], v3 offset:1024
	;; [unrolled: 1-line block ×6, first 2 shown]
	v_mul_u32_u24_e32 v3, 0x60, v1
	s_wait_dscnt 0x6
	v_fma_f64 v[8:9], v[8:9], v[4:5], 0
	s_wait_dscnt 0x5
	v_fma_f64 v[12:13], v[4:5], v[12:13], 0
	;; [unrolled: 2-line block ×3, first 2 shown]
	s_delay_alu instid0(VALU_DEP_3) | instskip(NEXT) | instid1(VALU_DEP_3)
	v_fmac_f64_e32 v[8:9], v[10:11], v[6:7]
	v_fmac_f64_e32 v[12:13], v[6:7], v[14:15]
	s_delay_alu instid0(VALU_DEP_3) | instskip(SKIP_1) | instid1(VALU_DEP_1)
	v_fmac_f64_e32 v[4:5], v[6:7], v[18:19]
	v_mul_u32_u24_e32 v6, 24, v54
	v_add3_u32 v2, v3, v6, v2
	s_wait_dscnt 0x2
	v_fmac_f64_e32 v[8:9], v[24:25], v[20:21]
	s_wait_dscnt 0x1
	v_fmac_f64_e32 v[12:13], v[20:21], v[28:29]
	;; [unrolled: 2-line block ×3, first 2 shown]
	s_delay_alu instid0(VALU_DEP_3) | instskip(NEXT) | instid1(VALU_DEP_3)
	v_fmac_f64_e32 v[8:9], v[26:27], v[22:23]
	v_fmac_f64_e32 v[12:13], v[22:23], v[30:31]
	s_delay_alu instid0(VALU_DEP_3)
	v_fmac_f64_e32 v[4:5], v[22:23], v[34:35]
	ds_store_2addr_stride64_b64 v2, v[8:9], v[12:13] offset0:3 offset1:4
	ds_store_b64 v2, v[4:5] offset:2560
.LBB0_34:
	s_or_b32 exec_lo, exec_lo, s0
	s_wait_dscnt 0x0
	s_barrier_signal -1
	s_barrier_wait -1
	s_and_saveexec_b32 s0, s4
	s_cbranch_execz .LBB0_38
; %bb.35:
	v_cmp_gt_u32_e32 vcc_lo, 3, v54
	s_and_b32 exec_lo, exec_lo, vcc_lo
	s_cbranch_execz .LBB0_38
; %bb.36:
	v_and_b32_e32 v2, 0x3ff, v0
	s_delay_alu instid0(VALU_DEP_1)
	v_cmp_gt_u32_e32 vcc_lo, 3, v2
	s_and_b32 exec_lo, exec_lo, vcc_lo
	s_cbranch_execz .LBB0_38
; %bb.37:
	v_lshlrev_b32_e32 v26, 3, v2
	v_lshlrev_b32_e32 v18, 5, v54
	s_delay_alu instid0(VALU_DEP_2) | instskip(NEXT) | instid1(VALU_DEP_1)
	v_mad_u32_u24 v27, 0x60, v1, v26
	v_add_nc_u32_e32 v28, 0x800, v27
	ds_load_b128 v[2:5], v18 offset:3072
	ds_load_2addr_b64 v[6:9], v27 offset0:192 offset1:195
	ds_load_2addr_b64 v[10:13], v28 offset1:3
	ds_load_2addr_b64 v[14:17], v28 offset0:64 offset1:67
	ds_load_b128 v[18:21], v18 offset:3088
	s_wait_dscnt 0x3
	v_fma_f64 v[22:23], v[6:7], v[2:3], 0
	s_wait_dscnt 0x2
	v_fma_f64 v[24:25], v[2:3], v[10:11], 0
	s_wait_dscnt 0x1
	v_fma_f64 v[14:15], v[2:3], v[14:15], 0
	s_delay_alu instid0(VALU_DEP_3) | instskip(NEXT) | instid1(VALU_DEP_3)
	v_fmac_f64_e32 v[22:23], v[8:9], v[4:5]
	v_fmac_f64_e32 v[24:25], v[4:5], v[12:13]
	s_delay_alu instid0(VALU_DEP_3)
	v_fmac_f64_e32 v[14:15], v[4:5], v[16:17]
	ds_load_2addr_b64 v[2:5], v27 offset0:198 offset1:201
	ds_load_2addr_b64 v[6:9], v28 offset0:6 offset1:9
	;; [unrolled: 1-line block ×3, first 2 shown]
	s_wait_dscnt 0x2
	v_fmac_f64_e32 v[22:23], v[2:3], v[18:19]
	s_wait_dscnt 0x1
	v_fmac_f64_e32 v[24:25], v[18:19], v[6:7]
	;; [unrolled: 2-line block ×3, first 2 shown]
	v_mul_u32_u24_e32 v2, 0x48, v1
	v_mul_u32_u24_e32 v3, 24, v54
	s_delay_alu instid0(VALU_DEP_1)
	v_add3_u32 v2, v2, v3, v26
	v_fmac_f64_e32 v[22:23], v[4:5], v[20:21]
	v_fmac_f64_e32 v[24:25], v[20:21], v[8:9]
	;; [unrolled: 1-line block ×3, first 2 shown]
	ds_store_2addr_stride64_b64 v2, v[22:23], v[24:25] offset1:1
	ds_store_b64 v2, v[14:15] offset:1024
.LBB0_38:
	s_or_b32 exec_lo, exec_lo, s0
	s_wait_dscnt 0x0
	s_barrier_signal -1
	s_barrier_wait -1
	s_and_saveexec_b32 s0, s2
	s_cbranch_execz .LBB0_42
; %bb.39:
	v_cmp_gt_u32_e32 vcc_lo, 3, v54
	s_and_b32 exec_lo, exec_lo, vcc_lo
	s_cbranch_execz .LBB0_42
; %bb.40:
	v_and_b32_e32 v0, 0x3ff, v0
	s_delay_alu instid0(VALU_DEP_1)
	v_cmp_gt_u32_e32 vcc_lo, 3, v0
	s_and_b32 exec_lo, exec_lo, vcc_lo
	s_cbranch_execz .LBB0_42
; %bb.41:
	v_mul_u32_u24_e32 v2, 24, v54
	v_dual_mov_b32 v3, 0 :: v_dual_lshlrev_b32 v12, 5, v1
	s_wait_kmcnt 0x0
	s_delay_alu instid0(VALU_DEP_1) | instskip(SKIP_1) | instid1(VALU_DEP_1)
	v_add_nc_u64_e32 v[4:5], s[14:15], v[2:3]
	v_lshlrev_b32_e32 v2, 3, v0
	v_mad_u32_u24 v28, v54, 24, v2
	s_delay_alu instid0(VALU_DEP_3) | instskip(NEXT) | instid1(VALU_DEP_1)
	v_add_nc_u64_e32 v[4:5], v[4:5], v[2:3]
	v_mad_co_u64_u32 v[4:5], null, 0x48, v1, v[4:5]
	s_delay_alu instid0(VALU_DEP_1)
	v_mad_nc_u64_u32 v[20:21], 0xd8, s6, v[4:5]
	global_load_b64 v[22:23], v[20:21], off
	ds_load_2addr_b64 v[0:3], v28 offset1:9
	ds_load_b128 v[4:7], v12 offset:3072
	ds_load_2addr_b64 v[8:11], v28 offset0:64 offset1:73
	ds_load_b128 v[12:15], v12 offset:3088
	ds_load_2addr_b64 v[16:19], v28 offset0:128 offset1:137
	s_wait_dscnt 0x3
	v_fma_f64 v[24:25], v[0:1], v[4:5], 0
	s_wait_dscnt 0x2
	v_fma_f64 v[26:27], v[4:5], v[8:9], 0
	;; [unrolled: 2-line block ×3, first 2 shown]
	s_delay_alu instid0(VALU_DEP_3) | instskip(NEXT) | instid1(VALU_DEP_3)
	v_fmac_f64_e32 v[24:25], v[2:3], v[6:7]
	v_fmac_f64_e32 v[26:27], v[6:7], v[10:11]
	ds_load_2addr_b64 v[0:3], v28 offset0:18 offset1:27
	ds_load_2addr_b64 v[8:11], v28 offset0:82 offset1:91
	v_fmac_f64_e32 v[16:17], v[6:7], v[18:19]
	ds_load_2addr_b64 v[4:7], v28 offset0:146 offset1:155
	s_wait_dscnt 0x2
	v_fmac_f64_e32 v[24:25], v[0:1], v[12:13]
	s_wait_dscnt 0x1
	v_fmac_f64_e32 v[26:27], v[12:13], v[8:9]
	;; [unrolled: 2-line block ×3, first 2 shown]
	s_delay_alu instid0(VALU_DEP_3) | instskip(NEXT) | instid1(VALU_DEP_3)
	v_fmac_f64_e32 v[24:25], v[2:3], v[14:15]
	v_fmac_f64_e32 v[26:27], v[14:15], v[10:11]
	s_delay_alu instid0(VALU_DEP_3) | instskip(NEXT) | instid1(VALU_DEP_2)
	v_fmac_f64_e32 v[16:17], v[14:15], v[6:7]
	v_add_f64_e32 v[0:1], v[24:25], v[26:27]
	s_delay_alu instid0(VALU_DEP_1) | instskip(SKIP_1) | instid1(VALU_DEP_1)
	v_add_f64_e32 v[0:1], v[0:1], v[16:17]
	s_wait_loadcnt 0x0
	v_add_f64_e32 v[0:1], v[0:1], v[22:23]
	global_store_b64 v[20:21], v[0:1], off
.LBB0_42:
	s_endpgm
	.section	.rodata,"a",@progbits
	.p2align	6, 0x0
	.amdhsa_kernel _ZN8rajaperf4apps13Diffusion3DPAILm64EEEvPdS2_S2_S2_S2_b
		.amdhsa_group_segment_fixed_size 3168
		.amdhsa_private_segment_fixed_size 0
		.amdhsa_kernarg_size 44
		.amdhsa_user_sgpr_count 2
		.amdhsa_user_sgpr_dispatch_ptr 0
		.amdhsa_user_sgpr_queue_ptr 0
		.amdhsa_user_sgpr_kernarg_segment_ptr 1
		.amdhsa_user_sgpr_dispatch_id 0
		.amdhsa_user_sgpr_kernarg_preload_length 0
		.amdhsa_user_sgpr_kernarg_preload_offset 0
		.amdhsa_user_sgpr_private_segment_size 0
		.amdhsa_wavefront_size32 1
		.amdhsa_uses_dynamic_stack 0
		.amdhsa_enable_private_segment 0
		.amdhsa_system_sgpr_workgroup_id_x 1
		.amdhsa_system_sgpr_workgroup_id_y 0
		.amdhsa_system_sgpr_workgroup_id_z 0
		.amdhsa_system_sgpr_workgroup_info 0
		.amdhsa_system_vgpr_workitem_id 2
		.amdhsa_next_free_vgpr 55
		.amdhsa_next_free_sgpr 16
		.amdhsa_named_barrier_count 0
		.amdhsa_reserve_vcc 1
		.amdhsa_float_round_mode_32 0
		.amdhsa_float_round_mode_16_64 0
		.amdhsa_float_denorm_mode_32 3
		.amdhsa_float_denorm_mode_16_64 3
		.amdhsa_fp16_overflow 0
		.amdhsa_memory_ordered 1
		.amdhsa_forward_progress 1
		.amdhsa_inst_pref_size 20
		.amdhsa_round_robin_scheduling 0
		.amdhsa_exception_fp_ieee_invalid_op 0
		.amdhsa_exception_fp_denorm_src 0
		.amdhsa_exception_fp_ieee_div_zero 0
		.amdhsa_exception_fp_ieee_overflow 0
		.amdhsa_exception_fp_ieee_underflow 0
		.amdhsa_exception_fp_ieee_inexact 0
		.amdhsa_exception_int_div_zero 0
	.end_amdhsa_kernel
	.section	.text._ZN8rajaperf4apps13Diffusion3DPAILm64EEEvPdS2_S2_S2_S2_b,"axG",@progbits,_ZN8rajaperf4apps13Diffusion3DPAILm64EEEvPdS2_S2_S2_S2_b,comdat
.Lfunc_end0:
	.size	_ZN8rajaperf4apps13Diffusion3DPAILm64EEEvPdS2_S2_S2_S2_b, .Lfunc_end0-_ZN8rajaperf4apps13Diffusion3DPAILm64EEEvPdS2_S2_S2_S2_b
                                        ; -- End function
	.set _ZN8rajaperf4apps13Diffusion3DPAILm64EEEvPdS2_S2_S2_S2_b.num_vgpr, 55
	.set _ZN8rajaperf4apps13Diffusion3DPAILm64EEEvPdS2_S2_S2_S2_b.num_agpr, 0
	.set _ZN8rajaperf4apps13Diffusion3DPAILm64EEEvPdS2_S2_S2_S2_b.numbered_sgpr, 16
	.set _ZN8rajaperf4apps13Diffusion3DPAILm64EEEvPdS2_S2_S2_S2_b.num_named_barrier, 0
	.set _ZN8rajaperf4apps13Diffusion3DPAILm64EEEvPdS2_S2_S2_S2_b.private_seg_size, 0
	.set _ZN8rajaperf4apps13Diffusion3DPAILm64EEEvPdS2_S2_S2_S2_b.uses_vcc, 1
	.set _ZN8rajaperf4apps13Diffusion3DPAILm64EEEvPdS2_S2_S2_S2_b.uses_flat_scratch, 0
	.set _ZN8rajaperf4apps13Diffusion3DPAILm64EEEvPdS2_S2_S2_S2_b.has_dyn_sized_stack, 0
	.set _ZN8rajaperf4apps13Diffusion3DPAILm64EEEvPdS2_S2_S2_S2_b.has_recursion, 0
	.set _ZN8rajaperf4apps13Diffusion3DPAILm64EEEvPdS2_S2_S2_S2_b.has_indirect_call, 0
	.section	.AMDGPU.csdata,"",@progbits
; Kernel info:
; codeLenInByte = 2464
; TotalNumSgprs: 18
; NumVgprs: 55
; ScratchSize: 0
; MemoryBound: 0
; FloatMode: 240
; IeeeMode: 1
; LDSByteSize: 3168 bytes/workgroup (compile time only)
; SGPRBlocks: 0
; VGPRBlocks: 3
; NumSGPRsForWavesPerEU: 18
; NumVGPRsForWavesPerEU: 55
; NamedBarCnt: 0
; Occupancy: 16
; WaveLimiterHint : 1
; COMPUTE_PGM_RSRC2:SCRATCH_EN: 0
; COMPUTE_PGM_RSRC2:USER_SGPR: 2
; COMPUTE_PGM_RSRC2:TRAP_HANDLER: 0
; COMPUTE_PGM_RSRC2:TGID_X_EN: 1
; COMPUTE_PGM_RSRC2:TGID_Y_EN: 0
; COMPUTE_PGM_RSRC2:TGID_Z_EN: 0
; COMPUTE_PGM_RSRC2:TIDIG_COMP_CNT: 2
	.section	.text._ZN4RAJA34launch_new_reduce_global_fcn_fixedIZN8rajaperf4apps13DIFFUSION3DPA17runHipVariantImplILm64EEEvNS1_9VariantIDEEUlNS_14LaunchContextTINS_3hip33LaunchContextIndicesAndDimsPolicyINS7_14IndicesAndDimsILb0ELb0ELb0ELb0EEEEEEEE_Li64ENS_4expt15ForallParamPackIJEEEEEvT_T1_,"axG",@progbits,_ZN4RAJA34launch_new_reduce_global_fcn_fixedIZN8rajaperf4apps13DIFFUSION3DPA17runHipVariantImplILm64EEEvNS1_9VariantIDEEUlNS_14LaunchContextTINS_3hip33LaunchContextIndicesAndDimsPolicyINS7_14IndicesAndDimsILb0ELb0ELb0ELb0EEEEEEEE_Li64ENS_4expt15ForallParamPackIJEEEEEvT_T1_,comdat
	.protected	_ZN4RAJA34launch_new_reduce_global_fcn_fixedIZN8rajaperf4apps13DIFFUSION3DPA17runHipVariantImplILm64EEEvNS1_9VariantIDEEUlNS_14LaunchContextTINS_3hip33LaunchContextIndicesAndDimsPolicyINS7_14IndicesAndDimsILb0ELb0ELb0ELb0EEEEEEEE_Li64ENS_4expt15ForallParamPackIJEEEEEvT_T1_ ; -- Begin function _ZN4RAJA34launch_new_reduce_global_fcn_fixedIZN8rajaperf4apps13DIFFUSION3DPA17runHipVariantImplILm64EEEvNS1_9VariantIDEEUlNS_14LaunchContextTINS_3hip33LaunchContextIndicesAndDimsPolicyINS7_14IndicesAndDimsILb0ELb0ELb0ELb0EEEEEEEE_Li64ENS_4expt15ForallParamPackIJEEEEEvT_T1_
	.globl	_ZN4RAJA34launch_new_reduce_global_fcn_fixedIZN8rajaperf4apps13DIFFUSION3DPA17runHipVariantImplILm64EEEvNS1_9VariantIDEEUlNS_14LaunchContextTINS_3hip33LaunchContextIndicesAndDimsPolicyINS7_14IndicesAndDimsILb0ELb0ELb0ELb0EEEEEEEE_Li64ENS_4expt15ForallParamPackIJEEEEEvT_T1_
	.p2align	8
	.type	_ZN4RAJA34launch_new_reduce_global_fcn_fixedIZN8rajaperf4apps13DIFFUSION3DPA17runHipVariantImplILm64EEEvNS1_9VariantIDEEUlNS_14LaunchContextTINS_3hip33LaunchContextIndicesAndDimsPolicyINS7_14IndicesAndDimsILb0ELb0ELb0ELb0EEEEEEEE_Li64ENS_4expt15ForallParamPackIJEEEEEvT_T1_,@function
_ZN4RAJA34launch_new_reduce_global_fcn_fixedIZN8rajaperf4apps13DIFFUSION3DPA17runHipVariantImplILm64EEEvNS1_9VariantIDEEUlNS_14LaunchContextTINS_3hip33LaunchContextIndicesAndDimsPolicyINS7_14IndicesAndDimsILb0ELb0ELb0ELb0EEEEEEEE_Li64ENS_4expt15ForallParamPackIJEEEEEvT_T1_: ; @_ZN4RAJA34launch_new_reduce_global_fcn_fixedIZN8rajaperf4apps13DIFFUSION3DPA17runHipVariantImplILm64EEEvNS1_9VariantIDEEUlNS_14LaunchContextTINS_3hip33LaunchContextIndicesAndDimsPolicyINS7_14IndicesAndDimsILb0ELb0ELb0ELb0EEEEEEEE_Li64ENS_4expt15ForallParamPackIJEEEEEvT_T1_
; %bb.0:
	s_load_b128 s[8:11], s[0:1], 0x0
	s_bfe_u32 s2, ttmp6, 0x4000c
	s_and_b32 s3, ttmp6, 15
	s_add_co_i32 s2, s2, 1
	s_getreg_b32 s4, hwreg(HW_REG_IB_STS2, 6, 4)
	s_mul_i32 s2, ttmp9, s2
	s_mov_b32 s13, 0
	s_add_co_i32 s3, s3, s2
	s_cmp_eq_u32 s4, 0
	s_cselect_b32 s12, ttmp9, s3
	s_wait_kmcnt 0x0
	v_cmp_le_i64_e64 s2, s[8:9], s[12:13]
	s_and_b32 vcc_lo, exec_lo, s2
	s_cbranch_vccnz .LBB1_37
; %bb.1:
	s_clause 0x1
	s_load_b128 s[4:7], s[0:1], 0x18
	s_load_b64 s[8:9], s[0:1], 0x28
	v_bfe_u32 v1, v0, 20, 10
	v_bfe_u32 v2, v0, 10, 10
	s_delay_alu instid0(VALU_DEP_2)
	v_cmp_gt_u32_e32 vcc_lo, 3, v1
	s_wait_xcnt 0x0
	s_and_saveexec_b32 s1, vcc_lo
	s_cbranch_execz .LBB1_5
; %bb.2:
	v_cmp_gt_u32_e64 s0, 3, v2
	s_and_b32 exec_lo, exec_lo, s0
	s_cbranch_execz .LBB1_5
; %bb.3:
	v_and_b32_e32 v3, 0x3ff, v0
	s_delay_alu instid0(VALU_DEP_1)
	v_cmp_gt_u32_e64 s0, 3, v3
	s_and_b32 exec_lo, exec_lo, s0
	s_cbranch_execz .LBB1_5
; %bb.4:
	v_dual_mov_b32 v5, 0 :: v_dual_lshlrev_b32 v4, 3, v3
	v_mul_u32_u24_e32 v8, 24, v2
	v_mul_u32_u24_e32 v3, 0x48, v1
	s_delay_alu instid0(VALU_DEP_3) | instskip(SKIP_1) | instid1(VALU_DEP_3)
	v_add_nc_u64_e32 v[6:7], s[10:11], v[4:5]
	v_mov_b32_e32 v9, v5
	v_add3_u32 v3, v3, v8, v4
	s_delay_alu instid0(VALU_DEP_2) | instskip(NEXT) | instid1(VALU_DEP_1)
	v_add_nc_u64_e32 v[6:7], v[6:7], v[8:9]
	v_mad_co_u64_u32 v[6:7], null, 0x48, v1, v[6:7]
	s_delay_alu instid0(VALU_DEP_1)
	v_mad_nc_u64_u32 v[6:7], 0xd8, s12, v[6:7]
	global_load_b64 v[6:7], v[6:7], off
	s_wait_loadcnt 0x0
	ds_store_b64 v3, v[6:7] offset:1024
.LBB1_5:
	s_or_b32 exec_lo, exec_lo, s1
	v_cmp_eq_u32_e64 s0, 0, v1
	s_wait_dscnt 0x0
	s_barrier_signal -1
	s_barrier_wait -1
	s_and_saveexec_b32 s2, s0
	s_cbranch_execz .LBB1_9
; %bb.6:
	v_cmp_gt_u32_e64 s1, 3, v2
	s_and_b32 exec_lo, exec_lo, s1
	s_cbranch_execz .LBB1_9
; %bb.7:
	v_and_b32_e32 v3, 0x3ff, v0
	s_delay_alu instid0(VALU_DEP_1)
	v_cmp_gt_u32_e64 s1, 4, v3
	s_and_b32 exec_lo, exec_lo, s1
	s_cbranch_execz .LBB1_9
; %bb.8:
	v_dual_mov_b32 v5, 0 :: v_dual_lshlrev_b32 v4, 3, v3
	s_wait_kmcnt 0x0
	s_delay_alu instid0(VALU_DEP_1) | instskip(SKIP_1) | instid1(VALU_DEP_1)
	v_add_nc_u64_e32 v[6:7], s[4:5], v[4:5]
	v_lshlrev_b32_e32 v4, 5, v2
	v_add_nc_u64_e32 v[4:5], v[6:7], v[4:5]
	v_lshlrev_b32_e32 v6, 3, v2
	s_delay_alu instid0(VALU_DEP_1)
	v_mad_u32_u24 v3, v3, 24, v6
	global_load_b64 v[4:5], v[4:5], off
	s_wait_loadcnt 0x0
	ds_store_b64 v3, v[4:5] offset:3072
.LBB1_9:
	s_or_b32 exec_lo, exec_lo, s2
	s_wait_dscnt 0x0
	s_barrier_signal -1
	s_barrier_wait -1
	s_and_saveexec_b32 s2, vcc_lo
	s_cbranch_execz .LBB1_13
; %bb.10:
	v_cmp_gt_u32_e64 s1, 3, v2
	s_and_b32 exec_lo, exec_lo, s1
	s_cbranch_execz .LBB1_13
; %bb.11:
	v_and_b32_e32 v3, 0x3ff, v0
	s_delay_alu instid0(VALU_DEP_1)
	v_cmp_gt_u32_e64 s1, 4, v3
	s_and_b32 exec_lo, exec_lo, s1
	s_cbranch_execz .LBB1_13
; %bb.12:
	v_mul_u32_u24_e32 v4, 24, v2
	v_mad_u32_u24 v8, v3, 24, 0xc00
	v_mul_u32_u24_e32 v14, 24, v3
	v_lshlrev_b32_e32 v3, 3, v3
	s_delay_alu instid0(VALU_DEP_4)
	v_mad_u32_u24 v12, 0x48, v1, v4
	ds_load_2addr_b64 v[4:7], v12 offset0:128 offset1:129
	ds_load_2addr_b64 v[8:11], v8 offset1:1
	ds_load_b64 v[12:13], v12 offset:1040
	ds_load_b64 v[14:15], v14 offset:3088
	s_wait_dscnt 0x2
	v_fma_f64 v[4:5], v[4:5], v[8:9], 0
	s_delay_alu instid0(VALU_DEP_1) | instskip(SKIP_2) | instid1(VALU_DEP_2)
	v_fmac_f64_e32 v[4:5], v[6:7], v[10:11]
	v_mul_u32_u24_e32 v6, 24, v1
	v_lshlrev_b32_e32 v7, 5, v2
	v_mad_u32_u24 v6, 0x48, v1, v6
	s_delay_alu instid0(VALU_DEP_1)
	v_add3_u32 v3, v6, v7, v3
	s_wait_dscnt 0x0
	v_fmac_f64_e32 v[4:5], v[12:13], v[14:15]
	ds_store_2addr_stride64_b64 v3, v[4:5], v[4:5] offset1:1
.LBB1_13:
	s_or_b32 exec_lo, exec_lo, s2
	s_wait_dscnt 0x0
	s_barrier_signal -1
	s_barrier_wait -1
	s_and_saveexec_b32 s2, vcc_lo
	s_cbranch_execz .LBB1_17
; %bb.14:
	v_cmp_gt_u32_e64 s1, 4, v2
	s_and_b32 exec_lo, exec_lo, s1
	s_cbranch_execz .LBB1_17
; %bb.15:
	v_and_b32_e32 v3, 0x3ff, v0
	s_delay_alu instid0(VALU_DEP_1)
	v_cmp_gt_u32_e64 s1, 4, v3
	s_and_b32 exec_lo, exec_lo, s1
	s_cbranch_execz .LBB1_17
; %bb.16:
	v_lshlrev_b32_e32 v3, 3, v3
	v_mad_u32_u24 v4, v2, 24, 0xc00
	v_mul_u32_u24_e32 v16, 24, v2
	s_delay_alu instid0(VALU_DEP_3)
	v_mad_u32_u24 v20, 0x60, v1, v3
	ds_load_2addr_b64 v[4:7], v4 offset1:1
	ds_load_2addr_b64 v[8:11], v20 offset0:8 offset1:64
	ds_load_2addr_b64 v[12:15], v20 offset1:4
	ds_load_b64 v[16:17], v16 offset:3088
	s_wait_dscnt 0x2
	v_fma_f64 v[18:19], v[10:11], v[4:5], 0
	s_wait_dscnt 0x1
	v_fma_f64 v[4:5], v[4:5], v[12:13], 0
	ds_load_2addr_b64 v[10:13], v20 offset0:68 offset1:72
	s_wait_dscnt 0x0
	v_fmac_f64_e32 v[18:19], v[10:11], v[6:7]
	v_fmac_f64_e32 v[4:5], v[6:7], v[14:15]
	v_dual_lshlrev_b32 v6, 7, v1 :: v_dual_lshlrev_b32 v7, 5, v2
	s_delay_alu instid0(VALU_DEP_1) | instskip(NEXT) | instid1(VALU_DEP_4)
	v_add3_u32 v3, v6, v7, v3
	v_fmac_f64_e32 v[18:19], v[12:13], v[16:17]
	s_delay_alu instid0(VALU_DEP_4)
	v_fmac_f64_e32 v[4:5], v[16:17], v[8:9]
	ds_store_2addr_stride64_b64 v3, v[18:19], v[4:5] offset0:3 offset1:4
	ds_store_b64 v3, v[4:5] offset:2560
.LBB1_17:
	s_or_b32 exec_lo, exec_lo, s2
	v_cmp_gt_u32_e64 s1, 4, v1
	s_wait_dscnt 0x0
	s_barrier_signal -1
	s_barrier_wait -1
	s_and_saveexec_b32 s3, s1
	s_cbranch_execz .LBB1_21
; %bb.18:
	v_cmp_gt_u32_e64 s2, 4, v2
	s_and_b32 exec_lo, exec_lo, s2
	s_cbranch_execz .LBB1_21
; %bb.19:
	v_and_b32_e32 v3, 0x3ff, v0
	s_delay_alu instid0(VALU_DEP_1)
	v_cmp_gt_u32_e64 s2, 4, v3
	s_and_b32 exec_lo, exec_lo, s2
	s_cbranch_execz .LBB1_21
; %bb.20:
	v_dual_mov_b32 v25, 0 :: v_dual_lshlrev_b32 v24, 3, v3
	v_dual_lshlrev_b32 v26, 5, v2 :: v_dual_lshlrev_b32 v28, 7, v1
	v_mad_u32_u24 v8, v1, 24, 0xc00
	s_wait_kmcnt 0x0
	s_delay_alu instid0(VALU_DEP_3) | instskip(SKIP_2) | instid1(VALU_DEP_2)
	v_add_nc_u64_e32 v[4:5], s[6:7], v[24:25]
	v_dual_mov_b32 v27, v25 :: v_dual_mov_b32 v29, v25
	v_add_nc_u32_e32 v3, v26, v24
	v_add_nc_u64_e32 v[4:5], v[4:5], v[26:27]
	s_delay_alu instid0(VALU_DEP_2) | instskip(NEXT) | instid1(VALU_DEP_2)
	v_add_nc_u32_e32 v20, 0x800, v3
	v_add_nc_u64_e32 v[4:5], v[4:5], v[28:29]
	s_delay_alu instid0(VALU_DEP_1)
	v_mad_nc_u64_u32 v[4:5], 0xc00, s12, v[4:5]
	s_clause 0x5
	global_load_b64 v[30:31], v[4:5], off offset:512
	global_load_b64 v[32:33], v[4:5], off offset:1536
	;; [unrolled: 1-line block ×3, first 2 shown]
	global_load_b64 v[36:37], v[4:5], off
	global_load_b64 v[38:39], v[4:5], off offset:1024
	global_load_b64 v[40:41], v[4:5], off offset:2560
	s_wait_xcnt 0x0
	v_add_nc_u32_e32 v4, 0x400, v3
	ds_load_2addr_b64 v[4:7], v4 offset0:96 offset1:128
	ds_load_2addr_b64 v[8:11], v8 offset1:1
	ds_load_b64 v[42:43], v3 offset:2816
	ds_load_2addr_b64 v[12:15], v3 offset0:192 offset1:208
	ds_load_2addr_b64 v[16:19], v20 offset0:16 offset1:32
	v_mul_u32_u24_e32 v3, 24, v1
	s_wait_dscnt 0x3
	v_fma_f64 v[6:7], v[8:9], v[6:7], 0
	s_wait_dscnt 0x1
	v_fma_f64 v[12:13], v[12:13], v[8:9], 0
	s_wait_dscnt 0x0
	s_delay_alu instid0(VALU_DEP_2)
	v_fmac_f64_e32 v[6:7], v[10:11], v[16:17]
	ds_load_2addr_b64 v[20:23], v20 offset0:64 offset1:80
	ds_load_b64 v[16:17], v3 offset:3088
	v_fmac_f64_e32 v[12:13], v[14:15], v[10:11]
	v_add3_u32 v3, v28, v26, v24
	s_wait_dscnt 0x1
	v_fma_f64 v[8:9], v[8:9], v[20:21], 0
	s_wait_dscnt 0x0
	v_fmac_f64_e32 v[6:7], v[16:17], v[18:19]
	s_delay_alu instid0(VALU_DEP_4) | instskip(NEXT) | instid1(VALU_DEP_3)
	v_fmac_f64_e32 v[12:13], v[4:5], v[16:17]
	v_fmac_f64_e32 v[8:9], v[10:11], v[22:23]
	s_delay_alu instid0(VALU_DEP_1) | instskip(SKIP_1) | instid1(VALU_DEP_4)
	v_fmac_f64_e32 v[8:9], v[16:17], v[42:43]
	s_wait_loadcnt 0x5
	v_mul_f64_e32 v[4:5], v[6:7], v[30:31]
	s_wait_loadcnt 0x4
	v_mul_f64_e32 v[10:11], v[6:7], v[32:33]
	;; [unrolled: 2-line block ×3, first 2 shown]
	s_wait_loadcnt 0x2
	s_delay_alu instid0(VALU_DEP_3) | instskip(NEXT) | instid1(VALU_DEP_3)
	v_fmac_f64_e32 v[4:5], v[12:13], v[36:37]
	v_fmac_f64_e32 v[10:11], v[12:13], v[30:31]
	s_wait_loadcnt 0x1
	s_delay_alu instid0(VALU_DEP_3) | instskip(NEXT) | instid1(VALU_DEP_3)
	v_fmac_f64_e32 v[6:7], v[12:13], v[38:39]
	v_fmac_f64_e32 v[4:5], v[8:9], v[38:39]
	s_delay_alu instid0(VALU_DEP_3) | instskip(SKIP_1) | instid1(VALU_DEP_3)
	v_fmac_f64_e32 v[10:11], v[8:9], v[34:35]
	s_wait_loadcnt 0x0
	v_fmac_f64_e32 v[6:7], v[8:9], v[40:41]
	ds_store_2addr_stride64_b64 v3, v[4:5], v[10:11] offset1:1
	ds_store_b64 v3, v[6:7] offset:1024
.LBB1_21:
	s_or_b32 exec_lo, exec_lo, s3
	s_wait_dscnt 0x0
	s_barrier_signal -1
	s_barrier_wait -1
	s_and_saveexec_b32 s2, s0
	s_cbranch_execz .LBB1_25
; %bb.22:
	v_cmp_gt_u32_e64 s0, 3, v2
	s_and_b32 exec_lo, exec_lo, s0
	s_cbranch_execz .LBB1_25
; %bb.23:
	v_and_b32_e32 v3, 0x3ff, v0
	s_delay_alu instid0(VALU_DEP_1)
	v_cmp_gt_u32_e64 s0, 4, v3
	s_and_b32 exec_lo, exec_lo, s0
	s_cbranch_execz .LBB1_25
; %bb.24:
	v_dual_mov_b32 v5, 0 :: v_dual_lshlrev_b32 v4, 3, v3
	s_delay_alu instid0(VALU_DEP_1) | instskip(SKIP_1) | instid1(VALU_DEP_2)
	v_dual_mov_b32 v9, v5 :: v_dual_lshlrev_b32 v8, 5, v2
	s_wait_kmcnt 0x0
	v_add_nc_u64_e32 v[6:7], s[4:5], v[4:5]
	s_delay_alu instid0(VALU_DEP_2) | instskip(NEXT) | instid1(VALU_DEP_2)
	v_add_nc_u32_e32 v3, v8, v4
	v_add_nc_u64_e32 v[6:7], v[6:7], v[8:9]
	global_load_b64 v[6:7], v[6:7], off
	s_wait_loadcnt 0x0
	ds_store_b64 v3, v[6:7] offset:3072
.LBB1_25:
	s_or_b32 exec_lo, exec_lo, s2
	s_wait_dscnt 0x0
	s_barrier_signal -1
	s_barrier_wait -1
	s_and_saveexec_b32 s2, s1
	s_cbranch_execz .LBB1_29
; %bb.26:
	v_cmp_gt_u32_e64 s0, 4, v2
	s_and_b32 exec_lo, exec_lo, s0
	s_cbranch_execz .LBB1_29
; %bb.27:
	v_and_b32_e32 v3, 0x3ff, v0
	s_delay_alu instid0(VALU_DEP_1)
	v_cmp_gt_u32_e64 s0, 3, v3
	s_and_b32 exec_lo, exec_lo, s0
	s_cbranch_execz .LBB1_29
; %bb.28:
	v_dual_lshlrev_b32 v4, 5, v2 :: v_dual_lshlrev_b32 v20, 5, v3
	v_lshlrev_b32_e32 v3, 3, v3
	s_delay_alu instid0(VALU_DEP_2)
	v_lshl_add_u32 v32, v1, 7, v4
	ds_load_b128 v[4:7], v20 offset:3072
	ds_load_b128 v[8:11], v32
	ds_load_b128 v[12:15], v32 offset:512
	ds_load_b128 v[16:19], v32 offset:1024
	;; [unrolled: 1-line block ×6, first 2 shown]
	s_wait_dscnt 0x6
	v_fma_f64 v[8:9], v[8:9], v[4:5], 0
	s_wait_dscnt 0x5
	v_fma_f64 v[12:13], v[4:5], v[12:13], 0
	;; [unrolled: 2-line block ×3, first 2 shown]
	s_delay_alu instid0(VALU_DEP_3) | instskip(NEXT) | instid1(VALU_DEP_3)
	v_fmac_f64_e32 v[8:9], v[10:11], v[6:7]
	v_fmac_f64_e32 v[12:13], v[6:7], v[14:15]
	s_delay_alu instid0(VALU_DEP_3) | instskip(SKIP_2) | instid1(VALU_DEP_1)
	v_fmac_f64_e32 v[4:5], v[6:7], v[18:19]
	v_mul_u32_u24_e32 v6, 0x60, v1
	v_mul_u32_u24_e32 v7, 24, v2
	v_add3_u32 v3, v6, v7, v3
	s_wait_dscnt 0x2
	v_fmac_f64_e32 v[8:9], v[24:25], v[20:21]
	s_wait_dscnt 0x1
	v_fmac_f64_e32 v[12:13], v[20:21], v[28:29]
	;; [unrolled: 2-line block ×3, first 2 shown]
	s_delay_alu instid0(VALU_DEP_3) | instskip(NEXT) | instid1(VALU_DEP_3)
	v_fmac_f64_e32 v[8:9], v[26:27], v[22:23]
	v_fmac_f64_e32 v[12:13], v[22:23], v[30:31]
	s_delay_alu instid0(VALU_DEP_3)
	v_fmac_f64_e32 v[4:5], v[22:23], v[34:35]
	ds_store_2addr_stride64_b64 v3, v[8:9], v[12:13] offset0:3 offset1:4
	ds_store_b64 v3, v[4:5] offset:2560
.LBB1_29:
	s_or_b32 exec_lo, exec_lo, s2
	s_wait_dscnt 0x0
	s_barrier_signal -1
	s_barrier_wait -1
	s_and_saveexec_b32 s2, s1
	s_cbranch_execz .LBB1_33
; %bb.30:
	v_cmp_gt_u32_e64 s0, 3, v2
	s_and_b32 exec_lo, exec_lo, s0
	s_cbranch_execz .LBB1_33
; %bb.31:
	v_and_b32_e32 v3, 0x3ff, v0
	s_delay_alu instid0(VALU_DEP_1)
	v_cmp_gt_u32_e64 s0, 3, v3
	s_and_b32 exec_lo, exec_lo, s0
	s_cbranch_execz .LBB1_33
; %bb.32:
	v_dual_lshlrev_b32 v3, 3, v3 :: v_dual_lshlrev_b32 v20, 5, v2
	s_delay_alu instid0(VALU_DEP_1) | instskip(NEXT) | instid1(VALU_DEP_1)
	v_mad_u32_u24 v28, 0x60, v1, v3
	v_add_nc_u32_e32 v29, 0x800, v28
	ds_load_b128 v[4:7], v20 offset:3072
	ds_load_2addr_b64 v[8:11], v28 offset0:192 offset1:195
	ds_load_2addr_b64 v[12:15], v29 offset1:3
	ds_load_2addr_b64 v[16:19], v29 offset0:64 offset1:67
	ds_load_b128 v[20:23], v20 offset:3088
	s_wait_dscnt 0x3
	v_fma_f64 v[24:25], v[8:9], v[4:5], 0
	s_wait_dscnt 0x2
	v_fma_f64 v[26:27], v[4:5], v[12:13], 0
	;; [unrolled: 2-line block ×3, first 2 shown]
	s_delay_alu instid0(VALU_DEP_3) | instskip(NEXT) | instid1(VALU_DEP_3)
	v_fmac_f64_e32 v[24:25], v[10:11], v[6:7]
	v_fmac_f64_e32 v[26:27], v[6:7], v[14:15]
	s_delay_alu instid0(VALU_DEP_3)
	v_fmac_f64_e32 v[16:17], v[6:7], v[18:19]
	ds_load_2addr_b64 v[4:7], v28 offset0:198 offset1:201
	ds_load_2addr_b64 v[8:11], v29 offset0:6 offset1:9
	;; [unrolled: 1-line block ×3, first 2 shown]
	s_wait_dscnt 0x2
	v_fmac_f64_e32 v[24:25], v[4:5], v[20:21]
	s_wait_dscnt 0x1
	v_fmac_f64_e32 v[26:27], v[20:21], v[8:9]
	;; [unrolled: 2-line block ×3, first 2 shown]
	v_mul_u32_u24_e32 v4, 0x48, v1
	v_mul_u32_u24_e32 v5, 24, v2
	s_delay_alu instid0(VALU_DEP_1)
	v_add3_u32 v3, v4, v5, v3
	v_fmac_f64_e32 v[24:25], v[6:7], v[22:23]
	v_fmac_f64_e32 v[26:27], v[22:23], v[10:11]
	;; [unrolled: 1-line block ×3, first 2 shown]
	ds_store_2addr_stride64_b64 v3, v[24:25], v[26:27] offset1:1
	ds_store_b64 v3, v[16:17] offset:1024
.LBB1_33:
	s_or_b32 exec_lo, exec_lo, s2
	s_wait_dscnt 0x0
	s_barrier_signal -1
	s_barrier_wait -1
	s_and_saveexec_b32 s0, vcc_lo
	s_cbranch_execz .LBB1_37
; %bb.34:
	v_cmp_gt_u32_e32 vcc_lo, 3, v2
	s_and_b32 exec_lo, exec_lo, vcc_lo
	s_cbranch_execz .LBB1_37
; %bb.35:
	v_and_b32_e32 v0, 0x3ff, v0
	s_delay_alu instid0(VALU_DEP_1)
	v_cmp_gt_u32_e32 vcc_lo, 3, v0
	s_and_b32 exec_lo, exec_lo, vcc_lo
	s_cbranch_execz .LBB1_37
; %bb.36:
	v_dual_mov_b32 v5, 0 :: v_dual_lshlrev_b32 v4, 3, v0
	v_mul_u32_u24_e32 v8, 24, v2
	v_lshlrev_b32_e32 v12, 5, v1
	s_delay_alu instid0(VALU_DEP_3) | instskip(SKIP_3) | instid1(VALU_DEP_1)
	v_mad_u32_u24 v28, v2, 24, v4
	s_wait_kmcnt 0x0
	v_add_nc_u64_e32 v[6:7], s[8:9], v[4:5]
	v_mov_b32_e32 v9, v5
	v_add_nc_u64_e32 v[6:7], v[6:7], v[8:9]
	s_delay_alu instid0(VALU_DEP_1) | instskip(NEXT) | instid1(VALU_DEP_1)
	v_mad_co_u64_u32 v[6:7], null, 0x48, v1, v[6:7]
	v_mad_nc_u64_u32 v[20:21], 0xd8, s12, v[6:7]
	global_load_b64 v[22:23], v[20:21], off
	ds_load_2addr_b64 v[0:3], v28 offset1:9
	ds_load_b128 v[4:7], v12 offset:3072
	ds_load_2addr_b64 v[8:11], v28 offset0:64 offset1:73
	ds_load_b128 v[12:15], v12 offset:3088
	ds_load_2addr_b64 v[16:19], v28 offset0:128 offset1:137
	s_wait_dscnt 0x3
	v_fma_f64 v[24:25], v[0:1], v[4:5], 0
	s_wait_dscnt 0x2
	v_fma_f64 v[26:27], v[4:5], v[8:9], 0
	;; [unrolled: 2-line block ×3, first 2 shown]
	s_delay_alu instid0(VALU_DEP_3) | instskip(NEXT) | instid1(VALU_DEP_3)
	v_fmac_f64_e32 v[24:25], v[2:3], v[6:7]
	v_fmac_f64_e32 v[26:27], v[6:7], v[10:11]
	ds_load_2addr_b64 v[0:3], v28 offset0:18 offset1:27
	ds_load_2addr_b64 v[8:11], v28 offset0:82 offset1:91
	v_fmac_f64_e32 v[16:17], v[6:7], v[18:19]
	ds_load_2addr_b64 v[4:7], v28 offset0:146 offset1:155
	s_wait_dscnt 0x2
	v_fmac_f64_e32 v[24:25], v[0:1], v[12:13]
	s_wait_dscnt 0x1
	v_fmac_f64_e32 v[26:27], v[12:13], v[8:9]
	;; [unrolled: 2-line block ×3, first 2 shown]
	s_delay_alu instid0(VALU_DEP_3) | instskip(NEXT) | instid1(VALU_DEP_3)
	v_fmac_f64_e32 v[24:25], v[2:3], v[14:15]
	v_fmac_f64_e32 v[26:27], v[14:15], v[10:11]
	s_delay_alu instid0(VALU_DEP_3) | instskip(NEXT) | instid1(VALU_DEP_2)
	v_fmac_f64_e32 v[16:17], v[14:15], v[6:7]
	v_add_f64_e32 v[0:1], v[24:25], v[26:27]
	s_delay_alu instid0(VALU_DEP_1) | instskip(SKIP_1) | instid1(VALU_DEP_1)
	v_add_f64_e32 v[0:1], v[0:1], v[16:17]
	s_wait_loadcnt 0x0
	v_add_f64_e32 v[0:1], v[22:23], v[0:1]
	global_store_b64 v[20:21], v[0:1], off
.LBB1_37:
	s_endpgm
	.section	.rodata,"a",@progbits
	.p2align	6, 0x0
	.amdhsa_kernel _ZN4RAJA34launch_new_reduce_global_fcn_fixedIZN8rajaperf4apps13DIFFUSION3DPA17runHipVariantImplILm64EEEvNS1_9VariantIDEEUlNS_14LaunchContextTINS_3hip33LaunchContextIndicesAndDimsPolicyINS7_14IndicesAndDimsILb0ELb0ELb0ELb0EEEEEEEE_Li64ENS_4expt15ForallParamPackIJEEEEEvT_T1_
		.amdhsa_group_segment_fixed_size 3168
		.amdhsa_private_segment_fixed_size 0
		.amdhsa_kernarg_size 52
		.amdhsa_user_sgpr_count 2
		.amdhsa_user_sgpr_dispatch_ptr 0
		.amdhsa_user_sgpr_queue_ptr 0
		.amdhsa_user_sgpr_kernarg_segment_ptr 1
		.amdhsa_user_sgpr_dispatch_id 0
		.amdhsa_user_sgpr_kernarg_preload_length 0
		.amdhsa_user_sgpr_kernarg_preload_offset 0
		.amdhsa_user_sgpr_private_segment_size 0
		.amdhsa_wavefront_size32 1
		.amdhsa_uses_dynamic_stack 0
		.amdhsa_enable_private_segment 0
		.amdhsa_system_sgpr_workgroup_id_x 1
		.amdhsa_system_sgpr_workgroup_id_y 0
		.amdhsa_system_sgpr_workgroup_id_z 0
		.amdhsa_system_sgpr_workgroup_info 0
		.amdhsa_system_vgpr_workitem_id 2
		.amdhsa_next_free_vgpr 44
		.amdhsa_next_free_sgpr 14
		.amdhsa_named_barrier_count 0
		.amdhsa_reserve_vcc 1
		.amdhsa_float_round_mode_32 0
		.amdhsa_float_round_mode_16_64 0
		.amdhsa_float_denorm_mode_32 3
		.amdhsa_float_denorm_mode_16_64 3
		.amdhsa_fp16_overflow 0
		.amdhsa_memory_ordered 1
		.amdhsa_forward_progress 1
		.amdhsa_inst_pref_size 19
		.amdhsa_round_robin_scheduling 0
		.amdhsa_exception_fp_ieee_invalid_op 0
		.amdhsa_exception_fp_denorm_src 0
		.amdhsa_exception_fp_ieee_div_zero 0
		.amdhsa_exception_fp_ieee_overflow 0
		.amdhsa_exception_fp_ieee_underflow 0
		.amdhsa_exception_fp_ieee_inexact 0
		.amdhsa_exception_int_div_zero 0
	.end_amdhsa_kernel
	.section	.text._ZN4RAJA34launch_new_reduce_global_fcn_fixedIZN8rajaperf4apps13DIFFUSION3DPA17runHipVariantImplILm64EEEvNS1_9VariantIDEEUlNS_14LaunchContextTINS_3hip33LaunchContextIndicesAndDimsPolicyINS7_14IndicesAndDimsILb0ELb0ELb0ELb0EEEEEEEE_Li64ENS_4expt15ForallParamPackIJEEEEEvT_T1_,"axG",@progbits,_ZN4RAJA34launch_new_reduce_global_fcn_fixedIZN8rajaperf4apps13DIFFUSION3DPA17runHipVariantImplILm64EEEvNS1_9VariantIDEEUlNS_14LaunchContextTINS_3hip33LaunchContextIndicesAndDimsPolicyINS7_14IndicesAndDimsILb0ELb0ELb0ELb0EEEEEEEE_Li64ENS_4expt15ForallParamPackIJEEEEEvT_T1_,comdat
.Lfunc_end1:
	.size	_ZN4RAJA34launch_new_reduce_global_fcn_fixedIZN8rajaperf4apps13DIFFUSION3DPA17runHipVariantImplILm64EEEvNS1_9VariantIDEEUlNS_14LaunchContextTINS_3hip33LaunchContextIndicesAndDimsPolicyINS7_14IndicesAndDimsILb0ELb0ELb0ELb0EEEEEEEE_Li64ENS_4expt15ForallParamPackIJEEEEEvT_T1_, .Lfunc_end1-_ZN4RAJA34launch_new_reduce_global_fcn_fixedIZN8rajaperf4apps13DIFFUSION3DPA17runHipVariantImplILm64EEEvNS1_9VariantIDEEUlNS_14LaunchContextTINS_3hip33LaunchContextIndicesAndDimsPolicyINS7_14IndicesAndDimsILb0ELb0ELb0ELb0EEEEEEEE_Li64ENS_4expt15ForallParamPackIJEEEEEvT_T1_
                                        ; -- End function
	.set _ZN4RAJA34launch_new_reduce_global_fcn_fixedIZN8rajaperf4apps13DIFFUSION3DPA17runHipVariantImplILm64EEEvNS1_9VariantIDEEUlNS_14LaunchContextTINS_3hip33LaunchContextIndicesAndDimsPolicyINS7_14IndicesAndDimsILb0ELb0ELb0ELb0EEEEEEEE_Li64ENS_4expt15ForallParamPackIJEEEEEvT_T1_.num_vgpr, 44
	.set _ZN4RAJA34launch_new_reduce_global_fcn_fixedIZN8rajaperf4apps13DIFFUSION3DPA17runHipVariantImplILm64EEEvNS1_9VariantIDEEUlNS_14LaunchContextTINS_3hip33LaunchContextIndicesAndDimsPolicyINS7_14IndicesAndDimsILb0ELb0ELb0ELb0EEEEEEEE_Li64ENS_4expt15ForallParamPackIJEEEEEvT_T1_.num_agpr, 0
	.set _ZN4RAJA34launch_new_reduce_global_fcn_fixedIZN8rajaperf4apps13DIFFUSION3DPA17runHipVariantImplILm64EEEvNS1_9VariantIDEEUlNS_14LaunchContextTINS_3hip33LaunchContextIndicesAndDimsPolicyINS7_14IndicesAndDimsILb0ELb0ELb0ELb0EEEEEEEE_Li64ENS_4expt15ForallParamPackIJEEEEEvT_T1_.numbered_sgpr, 14
	.set _ZN4RAJA34launch_new_reduce_global_fcn_fixedIZN8rajaperf4apps13DIFFUSION3DPA17runHipVariantImplILm64EEEvNS1_9VariantIDEEUlNS_14LaunchContextTINS_3hip33LaunchContextIndicesAndDimsPolicyINS7_14IndicesAndDimsILb0ELb0ELb0ELb0EEEEEEEE_Li64ENS_4expt15ForallParamPackIJEEEEEvT_T1_.num_named_barrier, 0
	.set _ZN4RAJA34launch_new_reduce_global_fcn_fixedIZN8rajaperf4apps13DIFFUSION3DPA17runHipVariantImplILm64EEEvNS1_9VariantIDEEUlNS_14LaunchContextTINS_3hip33LaunchContextIndicesAndDimsPolicyINS7_14IndicesAndDimsILb0ELb0ELb0ELb0EEEEEEEE_Li64ENS_4expt15ForallParamPackIJEEEEEvT_T1_.private_seg_size, 0
	.set _ZN4RAJA34launch_new_reduce_global_fcn_fixedIZN8rajaperf4apps13DIFFUSION3DPA17runHipVariantImplILm64EEEvNS1_9VariantIDEEUlNS_14LaunchContextTINS_3hip33LaunchContextIndicesAndDimsPolicyINS7_14IndicesAndDimsILb0ELb0ELb0ELb0EEEEEEEE_Li64ENS_4expt15ForallParamPackIJEEEEEvT_T1_.uses_vcc, 1
	.set _ZN4RAJA34launch_new_reduce_global_fcn_fixedIZN8rajaperf4apps13DIFFUSION3DPA17runHipVariantImplILm64EEEvNS1_9VariantIDEEUlNS_14LaunchContextTINS_3hip33LaunchContextIndicesAndDimsPolicyINS7_14IndicesAndDimsILb0ELb0ELb0ELb0EEEEEEEE_Li64ENS_4expt15ForallParamPackIJEEEEEvT_T1_.uses_flat_scratch, 0
	.set _ZN4RAJA34launch_new_reduce_global_fcn_fixedIZN8rajaperf4apps13DIFFUSION3DPA17runHipVariantImplILm64EEEvNS1_9VariantIDEEUlNS_14LaunchContextTINS_3hip33LaunchContextIndicesAndDimsPolicyINS7_14IndicesAndDimsILb0ELb0ELb0ELb0EEEEEEEE_Li64ENS_4expt15ForallParamPackIJEEEEEvT_T1_.has_dyn_sized_stack, 0
	.set _ZN4RAJA34launch_new_reduce_global_fcn_fixedIZN8rajaperf4apps13DIFFUSION3DPA17runHipVariantImplILm64EEEvNS1_9VariantIDEEUlNS_14LaunchContextTINS_3hip33LaunchContextIndicesAndDimsPolicyINS7_14IndicesAndDimsILb0ELb0ELb0ELb0EEEEEEEE_Li64ENS_4expt15ForallParamPackIJEEEEEvT_T1_.has_recursion, 0
	.set _ZN4RAJA34launch_new_reduce_global_fcn_fixedIZN8rajaperf4apps13DIFFUSION3DPA17runHipVariantImplILm64EEEvNS1_9VariantIDEEUlNS_14LaunchContextTINS_3hip33LaunchContextIndicesAndDimsPolicyINS7_14IndicesAndDimsILb0ELb0ELb0ELb0EEEEEEEE_Li64ENS_4expt15ForallParamPackIJEEEEEvT_T1_.has_indirect_call, 0
	.section	.AMDGPU.csdata,"",@progbits
; Kernel info:
; codeLenInByte = 2416
; TotalNumSgprs: 16
; NumVgprs: 44
; ScratchSize: 0
; MemoryBound: 0
; FloatMode: 240
; IeeeMode: 1
; LDSByteSize: 3168 bytes/workgroup (compile time only)
; SGPRBlocks: 0
; VGPRBlocks: 2
; NumSGPRsForWavesPerEU: 16
; NumVGPRsForWavesPerEU: 44
; NamedBarCnt: 0
; Occupancy: 16
; WaveLimiterHint : 1
; COMPUTE_PGM_RSRC2:SCRATCH_EN: 0
; COMPUTE_PGM_RSRC2:USER_SGPR: 2
; COMPUTE_PGM_RSRC2:TRAP_HANDLER: 0
; COMPUTE_PGM_RSRC2:TGID_X_EN: 1
; COMPUTE_PGM_RSRC2:TGID_Y_EN: 0
; COMPUTE_PGM_RSRC2:TGID_Z_EN: 0
; COMPUTE_PGM_RSRC2:TIDIG_COMP_CNT: 2
	.section	.AMDGPU.gpr_maximums,"",@progbits
	.set amdgpu.max_num_vgpr, 0
	.set amdgpu.max_num_agpr, 0
	.set amdgpu.max_num_sgpr, 0
	.section	.AMDGPU.csdata,"",@progbits
	.type	__hip_cuid_a110c8c57bba1f15,@object ; @__hip_cuid_a110c8c57bba1f15
	.section	.bss,"aw",@nobits
	.globl	__hip_cuid_a110c8c57bba1f15
__hip_cuid_a110c8c57bba1f15:
	.byte	0                               ; 0x0
	.size	__hip_cuid_a110c8c57bba1f15, 1

	.ident	"AMD clang version 22.0.0git (https://github.com/RadeonOpenCompute/llvm-project roc-7.2.4 26084 f58b06dce1f9c15707c5f808fd002e18c2accf7e)"
	.section	".note.GNU-stack","",@progbits
	.addrsig
	.addrsig_sym __hip_cuid_a110c8c57bba1f15
	.amdgpu_metadata
---
amdhsa.kernels:
  - .args:
      - .address_space:  global
        .offset:         0
        .size:           8
        .value_kind:     global_buffer
      - .address_space:  global
        .offset:         8
        .size:           8
        .value_kind:     global_buffer
      - .address_space:  global
        .offset:         16
        .size:           8
        .value_kind:     global_buffer
      - .address_space:  global
        .offset:         24
        .size:           8
        .value_kind:     global_buffer
      - .address_space:  global
        .offset:         32
        .size:           8
        .value_kind:     global_buffer
      - .offset:         40
        .size:           1
        .value_kind:     by_value
    .group_segment_fixed_size: 3168
    .kernarg_segment_align: 8
    .kernarg_segment_size: 44
    .language:       OpenCL C
    .language_version:
      - 2
      - 0
    .max_flat_workgroup_size: 64
    .name:           _ZN8rajaperf4apps13Diffusion3DPAILm64EEEvPdS2_S2_S2_S2_b
    .private_segment_fixed_size: 0
    .sgpr_count:     18
    .sgpr_spill_count: 0
    .symbol:         _ZN8rajaperf4apps13Diffusion3DPAILm64EEEvPdS2_S2_S2_S2_b.kd
    .uniform_work_group_size: 1
    .uses_dynamic_stack: false
    .vgpr_count:     55
    .vgpr_spill_count: 0
    .wavefront_size: 32
  - .args:
      - .offset:         0
        .size:           48
        .value_kind:     by_value
      - .offset:         48
        .size:           1
        .value_kind:     by_value
    .group_segment_fixed_size: 3168
    .kernarg_segment_align: 8
    .kernarg_segment_size: 52
    .language:       OpenCL C
    .language_version:
      - 2
      - 0
    .max_flat_workgroup_size: 64
    .name:           _ZN4RAJA34launch_new_reduce_global_fcn_fixedIZN8rajaperf4apps13DIFFUSION3DPA17runHipVariantImplILm64EEEvNS1_9VariantIDEEUlNS_14LaunchContextTINS_3hip33LaunchContextIndicesAndDimsPolicyINS7_14IndicesAndDimsILb0ELb0ELb0ELb0EEEEEEEE_Li64ENS_4expt15ForallParamPackIJEEEEEvT_T1_
    .private_segment_fixed_size: 0
    .sgpr_count:     16
    .sgpr_spill_count: 0
    .symbol:         _ZN4RAJA34launch_new_reduce_global_fcn_fixedIZN8rajaperf4apps13DIFFUSION3DPA17runHipVariantImplILm64EEEvNS1_9VariantIDEEUlNS_14LaunchContextTINS_3hip33LaunchContextIndicesAndDimsPolicyINS7_14IndicesAndDimsILb0ELb0ELb0ELb0EEEEEEEE_Li64ENS_4expt15ForallParamPackIJEEEEEvT_T1_.kd
    .uniform_work_group_size: 1
    .uses_dynamic_stack: false
    .vgpr_count:     44
    .vgpr_spill_count: 0
    .wavefront_size: 32
amdhsa.target:   amdgcn-amd-amdhsa--gfx1250
amdhsa.version:
  - 1
  - 2
...

	.end_amdgpu_metadata
